;; amdgpu-corpus repo=ROCm/rocFFT kind=compiled arch=gfx1030 opt=O3
	.text
	.amdgcn_target "amdgcn-amd-amdhsa--gfx1030"
	.amdhsa_code_object_version 6
	.protected	fft_rtc_fwd_len17_factors_17_wgs_120_tpt_1_dp_op_CI_CI_sbrc_xy_z_unaligned ; -- Begin function fft_rtc_fwd_len17_factors_17_wgs_120_tpt_1_dp_op_CI_CI_sbrc_xy_z_unaligned
	.globl	fft_rtc_fwd_len17_factors_17_wgs_120_tpt_1_dp_op_CI_CI_sbrc_xy_z_unaligned
	.p2align	8
	.type	fft_rtc_fwd_len17_factors_17_wgs_120_tpt_1_dp_op_CI_CI_sbrc_xy_z_unaligned,@function
fft_rtc_fwd_len17_factors_17_wgs_120_tpt_1_dp_op_CI_CI_sbrc_xy_z_unaligned: ; @fft_rtc_fwd_len17_factors_17_wgs_120_tpt_1_dp_op_CI_CI_sbrc_xy_z_unaligned
; %bb.0:
	s_clause 0x1
	s_load_dwordx4 s[0:3], s[4:5], 0x10
	s_load_dwordx2 s[22:23], s[4:5], 0x20
	s_waitcnt lgkmcnt(0)
	s_load_dwordx4 s[8:11], s[0:1], 0x8
	s_clause 0x1
	s_load_dwordx4 s[12:15], s[2:3], 0x0
	s_load_dwordx2 s[16:17], s[2:3], 0x10
	s_waitcnt lgkmcnt(0)
	s_add_i32 s0, s10, -1
	s_mul_hi_u32 s0, s0, 0x88888889
	s_lshr_b32 s0, s0, 6
	s_add_i32 s0, s0, 1
	s_mul_i32 s0, s0, s8
	v_cvt_f32_u32_e32 v1, s0
	s_sub_i32 s7, 0, s0
	v_rcp_iflag_f32_e32 v1, v1
	v_mul_f32_e32 v1, 0x4f7ffffe, v1
	v_cvt_u32_f32_e32 v1, v1
	v_readfirstlane_b32 s1, v1
	v_cvt_f32_u32_e32 v1, s8
	s_mul_i32 s7, s7, s1
	s_mul_hi_u32 s7, s1, s7
	s_add_i32 s1, s1, s7
	s_mul_hi_u32 s1, s6, s1
	s_mul_i32 s7, s1, s0
	s_add_i32 s11, s1, 1
	s_sub_i32 s7, s6, s7
	s_sub_i32 s15, s7, s0
	s_cmp_ge_u32 s7, s0
	s_cselect_b32 s1, s11, s1
	s_cselect_b32 s7, s15, s7
	s_add_i32 s11, s1, 1
	s_cmp_ge_u32 s7, s0
	s_mov_b32 s7, 0
	s_cselect_b32 s11, s11, s1
	s_mov_b32 s19, s7
	s_mul_i32 s0, s11, s0
	s_sub_i32 s18, s6, s0
	v_cmp_lt_u64_e64 s0, s[18:19], s[8:9]
	s_and_b32 vcc_lo, exec_lo, s0
	s_mov_b64 s[0:1], 0
	s_cbranch_vccnz .LBB0_2
; %bb.1:
	v_rcp_iflag_f32_e32 v2, v1
	s_sub_i32 s1, 0, s8
	v_mul_f32_e32 v2, 0x4f7ffffe, v2
	v_cvt_u32_f32_e32 v2, v2
	v_readfirstlane_b32 s0, v2
	s_mul_i32 s1, s1, s0
	s_mul_hi_u32 s1, s0, s1
	s_add_i32 s0, s0, s1
	s_mul_hi_u32 s0, s18, s0
	s_mul_i32 s1, s0, s8
	s_add_i32 s15, s0, 1
	s_sub_i32 s1, s18, s1
	s_sub_i32 s17, s1, s8
	s_cmp_ge_u32 s1, s8
	s_cselect_b32 s0, s15, s0
	s_cselect_b32 s1, s17, s1
	s_add_i32 s15, s0, 1
	s_cmp_ge_u32 s1, s8
	s_cselect_b32 s0, s15, s0
.LBB0_2:
	s_load_dwordx2 s[18:19], s[4:5], 0x58
	v_cmp_lt_u64_e64 s1, s[6:7], s[8:9]
	s_and_b32 vcc_lo, exec_lo, s1
	s_cbranch_vccnz .LBB0_4
; %bb.3:
	v_rcp_iflag_f32_e32 v1, v1
	s_sub_i32 s7, 0, s8
	v_mul_f32_e32 v1, 0x4f7ffffe, v1
	v_cvt_u32_f32_e32 v1, v1
	v_readfirstlane_b32 s1, v1
	s_mul_i32 s7, s7, s1
	s_mul_hi_u32 s7, s1, s7
	s_add_i32 s1, s1, s7
	s_mul_hi_u32 s1, s6, s1
	s_mul_i32 s1, s1, s8
	s_sub_i32 s1, s6, s1
	s_sub_i32 s6, s1, s8
	s_cmp_ge_u32 s1, s8
	s_cselect_b32 s1, s6, s1
	s_sub_i32 s6, s1, s8
	s_cmp_ge_u32 s1, s8
	s_cselect_b32 s6, s6, s1
.LBB0_4:
	s_load_dwordx2 s[8:9], s[4:5], 0x8
	s_mul_i32 s33, s0, 0x78
	s_mul_i32 s7, s6, s14
	s_mul_i32 s14, s33, s16
	v_lshl_add_u32 v3, v0, 4, 0
	s_add_i32 s7, s7, s14
	s_waitcnt lgkmcnt(0)
	s_lshl_b64 s[0:1], s[8:9], 3
	s_add_u32 s2, s2, s0
	s_addc_u32 s3, s3, s1
	s_load_dwordx2 s[2:3], s[2:3], 0x0
	s_waitcnt lgkmcnt(0)
	s_mul_i32 s3, s3, s11
	s_mul_hi_u32 s8, s2, s11
	s_mul_i32 s2, s2, s11
	s_add_i32 s8, s8, s3
	s_add_u32 s20, s2, s7
	s_addc_u32 s21, s8, 0
	s_add_u32 s8, s22, s0
	s_addc_u32 s9, s23, s1
	s_clause 0x2
	s_load_dwordx4 s[0:3], s[22:23], 0x0
	s_load_dwordx2 s[14:15], s[22:23], 0x10
	s_load_dwordx2 s[8:9], s[8:9], 0x0
	s_waitcnt lgkmcnt(0)
	s_add_i32 s3, s33, 0x78
	s_mov_b32 s7, 0
	s_cmp_le_u32 s3, s10
	s_mov_b32 s15, -1
	s_cselect_b32 s3, -1, 0
	s_and_b32 vcc_lo, exec_lo, s3
	s_cbranch_vccnz .LBB0_8
; %bb.5:
	s_lshl_b64 s[22:23], s[20:21], 4
	v_mov_b32_e32 v2, 0
	v_mov_b32_e32 v4, 0xf0f1
	v_mov_b32_e32 v5, v0
	v_mov_b32_e32 v6, v3
	s_add_u32 s15, s18, s22
	s_addc_u32 s17, s19, s23
	s_inst_prefetch 0x1
	.p2align	6
.LBB0_6:                                ; =>This Inner Loop Header: Depth=1
	v_mul_u32_u24_sdwa v1, v5, v4 dst_sel:DWORD dst_unused:UNUSED_PAD src0_sel:WORD_0 src1_sel:DWORD
	v_lshrrev_b32_e32 v10, 20, v1
	v_mul_lo_u16 v1, v10, 17
	v_sub_nc_u16 v1, v5, v1
	v_add_nc_u32_e32 v5, 0x78, v5
	v_and_b32_e32 v9, 0xffff, v1
	v_mad_u64_u32 v[7:8], null, s12, v9, 0
	v_mov_b32_e32 v1, v8
	v_mad_u64_u32 v[8:9], null, s13, v9, v[1:2]
	v_mul_lo_u32 v1, s16, v10
	v_lshlrev_b64 v[7:8], 4, v[7:8]
	v_lshlrev_b64 v[9:10], 4, v[1:2]
	v_add_co_u32 v1, vcc_lo, s15, v7
	v_add_co_ci_u32_e32 v8, vcc_lo, s17, v8, vcc_lo
	v_add_co_u32 v7, vcc_lo, v1, v9
	v_add_co_ci_u32_e32 v8, vcc_lo, v8, v10, vcc_lo
	v_cmp_lt_u32_e32 vcc_lo, 0x7f7, v5
	global_load_dwordx4 v[7:10], v[7:8], off
	s_or_b32 s7, vcc_lo, s7
	s_waitcnt vmcnt(0)
	ds_write_b128 v6, v[7:10]
	v_add_nc_u32_e32 v6, 0x780, v6
	s_andn2_b32 exec_lo, exec_lo, s7
	s_cbranch_execnz .LBB0_6
; %bb.7:
	s_inst_prefetch 0x2
	s_or_b32 exec_lo, exec_lo, s7
	s_mov_b32 s15, 0
.LBB0_8:
	s_and_b32 vcc_lo, exec_lo, s15
	s_cbranch_vccz .LBB0_10
; %bb.9:
	v_add_nc_u32_e32 v1, 0x78, v0
	v_mul_u32_u24_e32 v2, 0xf10, v0
	v_add_nc_u32_e32 v9, 0xf0, v0
	v_add_nc_u32_e32 v15, 0x168, v0
	s_lshl_b64 s[20:21], s[20:21], 4
	v_mul_u32_u24_e32 v4, 0xf10, v1
	v_lshrrev_b32_e32 v8, 16, v2
	v_mul_u32_u24_e32 v5, 0xf10, v9
	v_mul_u32_u24_e32 v11, 0xf10, v15
	v_mov_b32_e32 v2, 0
	v_lshrrev_b32_e32 v14, 16, v4
	v_mul_lo_u16 v4, v8, 17
	v_lshrrev_b32_e32 v16, 16, v5
	v_lshrrev_b32_e32 v24, 16, v11
	s_add_u32 s7, s18, s20
	v_mul_lo_u16 v6, v14, 17
	v_sub_nc_u16 v4, v0, v4
	v_mul_lo_u16 v12, v16, 17
	v_mul_lo_u16 v19, v24, 17
	s_addc_u32 s15, s19, s21
	v_sub_nc_u16 v1, v1, v6
	v_and_b32_e32 v10, 0xffff, v4
	v_sub_nc_u16 v9, v9, v12
	v_add_nc_u32_e32 v17, 0x1e0, v0
	v_sub_nc_u16 v19, v15, v19
	v_and_b32_e32 v13, 0xffff, v1
	v_mad_u64_u32 v[4:5], null, s12, v10, 0
	v_mul_lo_u32 v1, s16, v8
	v_and_b32_e32 v20, 0xffff, v9
	v_mad_u64_u32 v[6:7], null, s12, v13, 0
	v_add_nc_u32_e32 v18, 0x258, v0
	v_mul_u32_u24_e32 v21, 0xf10, v17
	v_add_nc_u32_e32 v22, 0x2d0, v0
	v_add_nc_u32_e32 v30, 0x528, v0
	;; [unrolled: 1-line block ×4, first 2 shown]
	v_mad_u64_u32 v[8:9], null, s13, v10, v[5:6]
	v_mad_u64_u32 v[9:10], null, s12, v20, 0
	v_lshrrev_b32_e32 v50, 16, v21
	v_add_nc_u32_e32 v37, 0x708, v0
	v_mad_u64_u32 v[11:12], null, s13, v13, v[7:8]
	v_mov_b32_e32 v5, v8
	v_lshlrev_b64 v[12:13], 4, v[1:2]
	v_mul_lo_u32 v1, s16, v14
	v_mov_b32_e32 v8, v10
	v_lshlrev_b64 v[4:5], 4, v[4:5]
	v_mov_b32_e32 v7, v11
	v_mad_u64_u32 v[14:15], null, s13, v20, v[8:9]
	v_lshlrev_b64 v[10:11], 4, v[1:2]
	v_lshlrev_b64 v[6:7], 4, v[6:7]
	v_add_co_u32 v1, vcc_lo, s7, v4
	v_add_co_ci_u32_e32 v5, vcc_lo, s15, v5, vcc_lo
	v_and_b32_e32 v8, 0xffff, v19
	v_add_co_u32 v6, vcc_lo, s7, v6
	v_add_co_ci_u32_e32 v7, vcc_lo, s15, v7, vcc_lo
	v_add_co_u32 v4, vcc_lo, v1, v12
	v_add_co_ci_u32_e32 v5, vcc_lo, v5, v13, vcc_lo
	;; [unrolled: 2-line block ×3, first 2 shown]
	v_mov_b32_e32 v10, v14
	v_mul_u32_u24_e32 v11, 0xf10, v18
	v_mul_lo_u32 v1, s16, v16
	v_mad_u64_u32 v[14:15], null, s12, v8, 0
	v_lshlrev_b64 v[6:7], 4, v[9:10]
	v_mul_lo_u16 v9, v50, 17
	v_lshrrev_b32_e32 v51, 16, v11
	v_sub_nc_u16 v9, v17, v9
	v_mul_lo_u16 v16, v51, 17
	v_add_co_u32 v10, vcc_lo, s7, v6
	v_add_co_ci_u32_e32 v11, vcc_lo, s15, v7, vcc_lo
	v_lshlrev_b64 v[6:7], 4, v[1:2]
	v_mov_b32_e32 v1, v15
	v_sub_nc_u16 v15, v18, v16
	v_mul_u32_u24_e32 v16, 0xf10, v22
	v_and_b32_e32 v23, 0xffff, v9
	v_mad_u64_u32 v[8:9], null, s13, v8, v[1:2]
	v_and_b32_e32 v9, 0xffff, v15
	v_lshrrev_b32_e32 v56, 16, v16
	v_mad_u64_u32 v[16:17], null, s12, v23, 0
	v_add_co_u32 v20, vcc_lo, v10, v6
	v_mad_u64_u32 v[18:19], null, s12, v9, 0
	v_mul_lo_u16 v25, v56, 17
	v_add_nc_u32_e32 v10, 0x348, v0
	v_mov_b32_e32 v1, v17
	v_mov_b32_e32 v15, v8
	v_add_co_ci_u32_e32 v21, vcc_lo, v11, v7, vcc_lo
	v_sub_nc_u16 v8, v22, v25
	v_mad_u64_u32 v[6:7], null, s13, v23, v[1:2]
	v_mov_b32_e32 v1, v19
	v_mul_u32_u24_e32 v17, 0xf10, v10
	v_add_nc_u32_e32 v25, 0x3c0, v0
	v_and_b32_e32 v11, 0xffff, v8
	v_lshlrev_b64 v[14:15], 4, v[14:15]
	v_mad_u64_u32 v[7:8], null, s13, v9, v[1:2]
	v_lshrrev_b32_e32 v57, 16, v17
	v_mul_u32_u24_e32 v8, 0xf10, v25
	v_add_nc_u32_e32 v9, 0x438, v0
	v_mad_u64_u32 v[22:23], null, s12, v11, 0
	v_mul_lo_u32 v1, s16, v24
	v_mul_lo_u16 v24, v57, 17
	v_lshrrev_b32_e32 v58, 16, v8
	v_mul_u32_u24_e32 v8, 0xf10, v9
	v_mov_b32_e32 v17, v6
	v_mov_b32_e32 v19, v7
	;; [unrolled: 1-line block ×3, first 2 shown]
	v_sub_nc_u16 v10, v10, v24
	v_mul_lo_u16 v23, v58, 17
	v_lshrrev_b32_e32 v59, 16, v8
	v_add_co_u32 v14, vcc_lo, s7, v14
	v_mad_u64_u32 v[6:7], null, s13, v11, v[6:7]
	v_and_b32_e32 v8, 0xffff, v10
	v_sub_nc_u16 v7, v25, v23
	v_mul_lo_u16 v10, v59, 17
	v_add_nc_u32_e32 v11, 0x4b0, v0
	v_lshlrev_b64 v[16:17], 4, v[16:17]
	v_mad_u64_u32 v[24:25], null, s12, v8, 0
	v_and_b32_e32 v23, 0xffff, v7
	v_sub_nc_u16 v7, v9, v10
	v_mul_u32_u24_e32 v9, 0xf10, v11
	v_add_co_ci_u32_e32 v15, vcc_lo, s15, v15, vcc_lo
	v_mad_u64_u32 v[26:27], null, s12, v23, 0
	v_and_b32_e32 v31, 0xffff, v7
	v_lshrrev_b32_e32 v60, 16, v9
	v_mul_u32_u24_e32 v9, 0xf10, v30
	v_mov_b32_e32 v7, v25
	v_lshlrev_b64 v[18:19], 4, v[18:19]
	v_mad_u64_u32 v[28:29], null, s12, v31, 0
	v_mul_lo_u16 v10, v60, 17
	v_lshrrev_b32_e32 v61, 16, v9
	v_mad_u64_u32 v[7:8], null, s13, v8, v[7:8]
	v_mov_b32_e32 v8, v27
	v_sub_nc_u16 v25, v11, v10
	v_mov_b32_e32 v9, v29
	v_mul_lo_u16 v27, v61, 17
	v_mad_u64_u32 v[10:11], null, s13, v23, v[8:9]
	v_and_b32_e32 v11, 0xffff, v25
	v_sub_nc_u16 v23, v30, v27
	v_mov_b32_e32 v25, v7
	v_mad_u64_u32 v[8:9], null, s13, v31, v[9:10]
	v_mad_u64_u32 v[30:31], null, s12, v11, 0
	v_and_b32_e32 v9, 0xffff, v23
	v_mov_b32_e32 v23, v6
	v_mov_b32_e32 v27, v10
	v_add_nc_u32_e32 v10, 0x618, v0
	v_mov_b32_e32 v29, v8
	v_mad_u64_u32 v[32:33], null, s12, v9, 0
	v_mov_b32_e32 v6, v31
	v_mul_u32_u24_e32 v8, 0xf10, v34
	v_lshlrev_b64 v[22:23], 4, v[22:23]
	v_lshlrev_b64 v[24:25], 4, v[24:25]
	;; [unrolled: 1-line block ×3, first 2 shown]
	v_mad_u64_u32 v[6:7], null, s13, v11, v[6:7]
	v_mov_b32_e32 v7, v33
	v_lshrrev_b32_e32 v62, 16, v8
	v_mul_u32_u24_e32 v11, 0xf10, v10
	v_lshlrev_b64 v[28:29], 4, v[28:29]
	v_mad_u64_u32 v[7:8], null, s13, v9, v[7:8]
	v_mul_lo_u16 v8, v62, 17
	v_lshrrev_b32_e32 v63, 16, v11
	v_mov_b32_e32 v31, v6
	v_mul_u32_u24_e32 v9, 0xf10, v36
	v_mul_u32_u24_e32 v11, 0xf10, v37
	v_sub_nc_u16 v6, v34, v8
	v_or_b32_e32 v8, 0x780, v0
	v_mul_lo_u16 v34, v63, 17
	v_mov_b32_e32 v33, v7
	v_lshrrev_b32_e32 v64, 16, v9
	v_lshrrev_b32_e32 v65, 16, v11
	v_mul_u32_u24_e32 v7, 0xf10, v8
	v_and_b32_e32 v9, 0xffff, v6
	v_sub_nc_u16 v6, v10, v34
	v_mul_lo_u16 v10, v64, 17
	v_mul_lo_u16 v11, v65, 17
	v_lshrrev_b32_e32 v66, 16, v7
	v_mad_u64_u32 v[34:35], null, s12, v9, 0
	v_and_b32_e32 v44, 0xffff, v6
	v_sub_nc_u16 v6, v36, v10
	v_mul_lo_u16 v7, v66, 17
	v_sub_nc_u16 v10, v37, v11
	v_lshlrev_b64 v[30:31], 4, v[30:31]
	v_mad_u64_u32 v[36:37], null, s12, v44, 0
	v_sub_nc_u16 v7, v8, v7
	v_and_b32_e32 v11, 0xffff, v6
	v_mov_b32_e32 v6, v35
	v_and_b32_e32 v35, 0xffff, v10
	v_lshlrev_b64 v[32:33], 4, v[32:33]
	v_and_b32_e32 v48, 0xffff, v7
	v_mov_b32_e32 v7, v37
	v_mad_u64_u32 v[38:39], null, s12, v11, 0
	v_mad_u64_u32 v[40:41], null, s12, v35, 0
	;; [unrolled: 1-line block ×4, first 2 shown]
	v_mov_b32_e32 v6, v39
	v_mad_u64_u32 v[9:10], null, s13, v44, v[7:8]
	v_mov_b32_e32 v7, v41
	v_mad_u64_u32 v[44:45], null, s13, v11, v[6:7]
	;; [unrolled: 2-line block ×3, first 2 shown]
	v_lshlrev_b64 v[46:47], 4, v[1:2]
	v_mul_lo_u32 v1, s16, v50
	v_mad_u64_u32 v[48:49], null, s13, v48, v[6:7]
	v_mov_b32_e32 v35, v8
	v_mov_b32_e32 v37, v9
	;; [unrolled: 1-line block ×3, first 2 shown]
	s_clause 0x1
	global_load_dwordx4 v[4:7], v[4:5], off
	global_load_dwordx4 v[8:11], v[12:13], off
	v_mov_b32_e32 v39, v44
	v_lshlrev_b64 v[12:13], 4, v[1:2]
	v_mul_lo_u32 v1, s16, v51
	v_mov_b32_e32 v43, v48
	v_lshlrev_b64 v[52:53], 4, v[40:41]
	v_add_co_u32 v40, vcc_lo, v14, v46
	v_add_co_ci_u32_e32 v41, vcc_lo, v15, v47, vcc_lo
	v_lshlrev_b64 v[54:55], 4, v[42:43]
	v_add_co_u32 v42, vcc_lo, s7, v16
	v_lshlrev_b64 v[14:15], 4, v[1:2]
	v_mul_lo_u32 v1, s16, v56
	v_add_co_ci_u32_e32 v43, vcc_lo, s15, v17, vcc_lo
	v_add_co_u32 v18, vcc_lo, s7, v18
	v_add_co_ci_u32_e32 v19, vcc_lo, s15, v19, vcc_lo
	v_add_co_u32 v44, vcc_lo, s7, v22
	;; [unrolled: 2-line block ×3, first 2 shown]
	v_lshlrev_b64 v[16:17], 4, v[1:2]
	v_mul_lo_u32 v1, s16, v57
	v_add_co_ci_u32_e32 v47, vcc_lo, s15, v25, vcc_lo
	v_add_co_u32 v48, vcc_lo, s7, v26
	v_add_co_ci_u32_e32 v49, vcc_lo, s15, v27, vcc_lo
	v_add_co_u32 v22, vcc_lo, v42, v12
	v_add_co_ci_u32_e32 v23, vcc_lo, v43, v13, vcc_lo
	v_lshlrev_b64 v[12:13], 4, v[1:2]
	v_mul_lo_u32 v1, s16, v58
	v_add_co_u32 v42, vcc_lo, s7, v28
	v_add_co_ci_u32_e32 v43, vcc_lo, s15, v29, vcc_lo
	v_add_co_u32 v50, vcc_lo, s7, v30
	v_add_co_ci_u32_e32 v51, vcc_lo, s15, v31, vcc_lo
	v_lshlrev_b64 v[24:25], 4, v[1:2]
	v_mul_lo_u32 v1, s16, v59
	v_lshlrev_b64 v[34:35], 4, v[34:35]
	v_add_co_u32 v56, vcc_lo, s7, v32
	v_add_co_ci_u32_e32 v57, vcc_lo, s15, v33, vcc_lo
	v_lshlrev_b64 v[36:37], 4, v[36:37]
	v_add_co_u32 v26, vcc_lo, v18, v14
	v_lshlrev_b64 v[28:29], 4, v[1:2]
	v_mul_lo_u32 v1, s16, v60
	v_add_co_ci_u32_e32 v27, vcc_lo, v19, v15, vcc_lo
	v_lshlrev_b64 v[38:39], 4, v[38:39]
	v_add_co_u32 v58, vcc_lo, s7, v34
	v_add_co_ci_u32_e32 v59, vcc_lo, s15, v35, vcc_lo
	v_lshlrev_b64 v[30:31], 4, v[1:2]
	v_mul_lo_u32 v1, s16, v61
	v_add_co_u32 v60, vcc_lo, s7, v36
	v_add_co_ci_u32_e32 v67, vcc_lo, s15, v37, vcc_lo
	v_add_co_u32 v61, vcc_lo, s7, v38
	v_add_co_ci_u32_e32 v68, vcc_lo, s15, v39, vcc_lo
	v_lshlrev_b64 v[34:35], 4, v[1:2]
	v_mul_lo_u32 v1, s16, v62
	v_add_co_u32 v32, vcc_lo, v44, v16
	v_add_co_ci_u32_e32 v33, vcc_lo, v45, v17, vcc_lo
	v_add_co_u32 v36, vcc_lo, v46, v12
	v_add_co_ci_u32_e32 v37, vcc_lo, v47, v13, vcc_lo
	s_clause 0x1
	global_load_dwordx4 v[12:15], v[20:21], off
	global_load_dwordx4 v[16:19], v[40:41], off
	v_lshlrev_b64 v[40:41], 4, v[1:2]
	v_mul_lo_u32 v1, s16, v63
	v_add_co_u32 v38, vcc_lo, v48, v24
	v_add_co_ci_u32_e32 v39, vcc_lo, v49, v25, vcc_lo
	v_add_co_u32 v42, vcc_lo, v42, v28
	v_add_co_ci_u32_e32 v43, vcc_lo, v43, v29, vcc_lo
	v_lshlrev_b64 v[46:47], 4, v[1:2]
	v_mul_lo_u32 v1, s16, v64
	v_add_co_u32 v44, vcc_lo, v50, v30
	v_add_co_ci_u32_e32 v45, vcc_lo, v51, v31, vcc_lo
	v_add_co_u32 v48, vcc_lo, v56, v34
	s_clause 0x1
	global_load_dwordx4 v[20:23], v[22:23], off
	global_load_dwordx4 v[24:27], v[26:27], off
	v_add_co_ci_u32_e32 v49, vcc_lo, v57, v35, vcc_lo
	s_clause 0x1
	global_load_dwordx4 v[28:31], v[32:33], off
	global_load_dwordx4 v[32:35], v[36:37], off
	v_lshlrev_b64 v[36:37], 4, v[1:2]
	v_mul_lo_u32 v1, s16, v65
	v_add_co_u32 v56, vcc_lo, v58, v40
	v_add_co_ci_u32_e32 v57, vcc_lo, v59, v41, vcc_lo
	v_add_co_u32 v58, vcc_lo, v60, v46
	v_add_co_ci_u32_e32 v59, vcc_lo, v67, v47, vcc_lo
	v_lshlrev_b64 v[62:63], 4, v[1:2]
	v_mul_lo_u32 v1, s16, v66
	v_add_co_u32 v60, vcc_lo, v61, v36
	v_add_co_ci_u32_e32 v61, vcc_lo, v68, v37, vcc_lo
	v_add_co_u32 v52, vcc_lo, s7, v52
	v_add_co_ci_u32_e32 v53, vcc_lo, s15, v53, vcc_lo
	v_add_co_u32 v54, vcc_lo, s7, v54
	v_lshlrev_b64 v[1:2], 4, v[1:2]
	v_add_co_ci_u32_e32 v55, vcc_lo, s15, v55, vcc_lo
	v_add_co_u32 v64, vcc_lo, v52, v62
	v_add_co_ci_u32_e32 v65, vcc_lo, v53, v63, vcc_lo
	v_add_co_u32 v1, vcc_lo, v54, v1
	v_add_co_ci_u32_e32 v2, vcc_lo, v55, v2, vcc_lo
	s_clause 0x8
	global_load_dwordx4 v[36:39], v[38:39], off
	global_load_dwordx4 v[40:43], v[42:43], off
	;; [unrolled: 1-line block ×9, first 2 shown]
	s_waitcnt vmcnt(16)
	ds_write_b128 v3, v[4:7]
	s_waitcnt vmcnt(15)
	ds_write_b128 v3, v[8:11] offset:1920
	s_waitcnt vmcnt(14)
	ds_write_b128 v3, v[12:15] offset:3840
	s_waitcnt vmcnt(13)
	ds_write_b128 v3, v[16:19] offset:5760
	s_waitcnt vmcnt(12)
	ds_write_b128 v3, v[20:23] offset:7680
	s_waitcnt vmcnt(11)
	ds_write_b128 v3, v[24:27] offset:9600
	s_waitcnt vmcnt(10)
	ds_write_b128 v3, v[28:31] offset:11520
	s_waitcnt vmcnt(9)
	ds_write_b128 v3, v[32:35] offset:13440
	s_waitcnt vmcnt(8)
	ds_write_b128 v3, v[36:39] offset:15360
	s_waitcnt vmcnt(7)
	ds_write_b128 v3, v[40:43] offset:17280
	s_waitcnt vmcnt(6)
	ds_write_b128 v3, v[44:47] offset:19200
	s_waitcnt vmcnt(5)
	ds_write_b128 v3, v[48:51] offset:21120
	s_waitcnt vmcnt(4)
	ds_write_b128 v3, v[52:55] offset:23040
	s_waitcnt vmcnt(3)
	ds_write_b128 v3, v[56:59] offset:24960
	s_waitcnt vmcnt(2)
	ds_write_b128 v3, v[60:63] offset:26880
	s_waitcnt vmcnt(1)
	ds_write_b128 v3, v[64:67] offset:28800
	s_waitcnt vmcnt(0)
	ds_write_b128 v3, v[68:71] offset:30720
.LBB0_10:
	v_add_nc_u32_e32 v1, s33, v0
	s_waitcnt lgkmcnt(0)
	s_barrier
	buffer_gl0_inv
	s_mov_b32 s28, 0x5d8e7cdc
	v_mul_hi_u32 v2, 0x88888889, v1
	s_mov_b32 s29, 0xbfd71e95
	s_mov_b32 s24, 0x370991
	;; [unrolled: 1-line block ×7, first 2 shown]
	v_lshrrev_b32_e32 v2, 6, v2
	s_mov_b32 s13, 0x3fe7a5f6
	s_mov_b32 s47, 0xbfeca52d
	;; [unrolled: 1-line block ×4, first 2 shown]
	v_mul_lo_u32 v2, 0x78, v2
	s_mov_b32 s26, 0x923c349f
	s_mov_b32 s30, 0x6c9a05f6
	;; [unrolled: 1-line block ×7, first 2 shown]
	v_sub_nc_u32_e32 v1, v1, v2
	s_mov_b32 s31, 0xbfe9895b
	s_mov_b32 s45, 0xbfe0d888
	;; [unrolled: 1-line block ×4, first 2 shown]
	v_mad_u32_u24 v123, 0x110, v1, 0
	s_mov_b32 s22, 0xc61f0d01
	s_mov_b32 s19, 0x3fb79ee6
	s_mov_b32 s23, 0xbfd183b1
	s_mov_b32 s20, 0x6ed5f1bb
	ds_read_b128 v[1:4], v123
	ds_read_b128 v[9:12], v123 offset:16
	ds_read_b128 v[25:28], v123 offset:32
	;; [unrolled: 1-line block ×3, first 2 shown]
	s_mov_b32 s38, 0x910ea3b9
	s_mov_b32 s36, 0x7faef3
	;; [unrolled: 1-line block ×18, first 2 shown]
	s_waitcnt lgkmcnt(2)
	v_add_f64 v[13:14], v[1:2], v[9:10]
	v_add_f64 v[15:16], v[3:4], v[11:12]
	s_waitcnt lgkmcnt(1)
	v_add_f64 v[13:14], v[13:14], v[25:26]
	v_add_f64 v[15:16], v[15:16], v[27:28]
	;; [unrolled: 3-line block ×3, first 2 shown]
	ds_read_b128 v[13:16], v123 offset:64
	ds_read_b128 v[17:20], v123 offset:80
	s_waitcnt lgkmcnt(1)
	v_add_f64 v[21:22], v[21:22], v[13:14]
	v_add_f64 v[23:24], v[23:24], v[15:16]
	s_waitcnt lgkmcnt(0)
	v_add_f64 v[33:34], v[21:22], v[17:18]
	v_add_f64 v[35:36], v[23:24], v[19:20]
	ds_read_b128 v[21:24], v123 offset:96
	ds_read_b128 v[29:32], v123 offset:112
	s_waitcnt lgkmcnt(1)
	v_add_f64 v[33:34], v[33:34], v[21:22]
	v_add_f64 v[35:36], v[35:36], v[23:24]
	s_waitcnt lgkmcnt(0)
	v_add_f64 v[41:42], v[33:34], v[29:30]
	v_add_f64 v[43:44], v[35:36], v[31:32]
	ds_read_b128 v[33:36], v123 offset:128
	ds_read_b128 v[37:40], v123 offset:144
	;; [unrolled: 1-line block ×4, first 2 shown]
	s_waitcnt lgkmcnt(3)
	v_add_f64 v[41:42], v[41:42], v[33:34]
	v_add_f64 v[43:44], v[43:44], v[35:36]
	s_waitcnt lgkmcnt(1)
	v_add_f64 v[93:94], v[11:12], -v[83:84]
	v_add_f64 v[95:96], v[9:10], -v[81:82]
	v_add_f64 v[97:98], v[9:10], v[81:82]
	v_add_f64 v[99:100], v[11:12], v[83:84]
	;; [unrolled: 1-line block ×4, first 2 shown]
	ds_read_b128 v[41:44], v123 offset:160
	ds_read_b128 v[85:88], v123 offset:224
	;; [unrolled: 1-line block ×3, first 2 shown]
	v_mul_f64 v[101:102], v[93:94], s[28:29]
	v_mul_f64 v[103:104], v[95:96], s[28:29]
	ds_read_b128 v[65:68], v123 offset:192
	ds_read_b128 v[9:12], v123 offset:208
	v_mul_f64 v[117:118], v[95:96], s[40:41]
	v_mul_f64 v[119:120], v[95:96], s[46:47]
	;; [unrolled: 1-line block ×7, first 2 shown]
	s_waitcnt lgkmcnt(0)
	s_barrier
	buffer_gl0_inv
	v_add_f64 v[55:56], v[7:8], -v[87:88]
	v_add_f64 v[45:46], v[45:46], v[41:42]
	v_add_f64 v[47:48], v[47:48], v[43:44]
	v_add_f64 v[49:50], v[25:26], -v[89:90]
	v_add_f64 v[63:64], v[27:28], -v[91:92]
	v_fma_f64 v[105:106], v[97:98], s[24:25], -v[101:102]
	v_fma_f64 v[107:108], v[99:100], s[24:25], v[103:104]
	v_add_f64 v[61:62], v[17:18], v[65:66]
	v_add_f64 v[69:70], v[19:20], -v[67:68]
	v_add_f64 v[71:72], v[13:14], v[9:10]
	v_add_f64 v[75:76], v[13:14], -v[9:10]
	v_add_f64 v[79:80], v[15:16], -v[11:12]
	v_fma_f64 v[101:102], v[97:98], s[24:25], v[101:102]
	v_fma_f64 v[152:153], v[99:100], s[22:23], v[124:125]
	v_fma_f64 v[124:125], v[99:100], s[22:23], -v[124:125]
	v_mul_f64 v[13:14], v[55:56], s[46:47]
	v_add_f64 v[51:52], v[45:46], v[57:58]
	v_add_f64 v[53:54], v[47:48], v[59:60]
	v_mul_f64 v[111:112], v[49:50], s[40:41]
	v_mul_f64 v[109:110], v[63:64], s[40:41]
	v_add_f64 v[47:48], v[29:30], v[41:42]
	v_add_f64 v[45:46], v[31:32], v[43:44]
	v_add_f64 v[41:42], v[29:30], -v[41:42]
	v_add_f64 v[43:44], v[31:32], -v[43:44]
	v_add_f64 v[31:32], v[33:34], v[37:38]
	v_add_f64 v[29:30], v[35:36], v[39:40]
	v_add_f64 v[33:34], v[33:34], -v[37:38]
	v_add_f64 v[35:36], v[35:36], -v[39:40]
	v_add_f64 v[39:40], v[21:22], v[57:58]
	v_add_f64 v[37:38], v[23:24], v[59:60]
	v_mul_f64 v[128:129], v[79:80], s[42:43]
	v_mul_f64 v[130:131], v[75:76], s[42:43]
	;; [unrolled: 1-line block ×3, first 2 shown]
	v_add_f64 v[101:102], v[1:2], v[101:102]
	v_add_f64 v[152:153], v[3:4], v[152:153]
	;; [unrolled: 1-line block ×4, first 2 shown]
	v_add_f64 v[51:52], v[5:6], -v[85:86]
	v_add_f64 v[53:54], v[25:26], v[89:90]
	v_add_f64 v[25:26], v[27:28], v[91:92]
	v_add_f64 v[27:28], v[21:22], -v[57:58]
	v_add_f64 v[57:58], v[23:24], -v[59:60]
	v_add_f64 v[59:60], v[19:20], v[67:68]
	v_add_f64 v[65:66], v[17:18], -v[65:66]
	v_add_f64 v[67:68], v[15:16], v[11:12]
	v_add_f64 v[19:20], v[1:2], v[105:106]
	;; [unrolled: 1-line block ×3, first 2 shown]
	v_mul_f64 v[107:108], v[93:94], s[26:27]
	v_mul_f64 v[105:106], v[93:94], s[42:43]
	;; [unrolled: 1-line block ×3, first 2 shown]
	v_fma_f64 v[160:161], v[61:62], s[22:23], -v[132:133]
	v_add_f64 v[9:10], v[73:74], v[9:10]
	v_add_f64 v[11:12], v[77:78], v[11:12]
	v_add_f64 v[77:78], v[5:6], v[85:86]
	v_add_f64 v[73:74], v[7:8], v[87:88]
	v_mul_f64 v[15:16], v[51:52], s[46:47]
	v_fma_f64 v[17:18], v[53:54], s[12:13], -v[109:110]
	v_fma_f64 v[21:22], v[25:26], s[12:13], v[111:112]
	v_mul_f64 v[5:6], v[93:94], s[40:41]
	v_mul_f64 v[7:8], v[93:94], s[46:47]
	;; [unrolled: 1-line block ×5, first 2 shown]
	v_fma_f64 v[148:149], v[97:98], s[22:23], -v[107:108]
	v_fma_f64 v[146:147], v[97:98], s[18:19], -v[105:106]
	v_fma_f64 v[105:106], v[97:98], s[18:19], v[105:106]
	v_add_f64 v[9:10], v[9:10], v[85:86]
	v_add_f64 v[11:12], v[11:12], v[87:88]
	v_mul_f64 v[85:86], v[95:96], s[44:45]
	v_mul_f64 v[87:88], v[95:96], s[34:35]
	v_fma_f64 v[95:96], v[77:78], s[16:17], -v[13:14]
	v_add_f64 v[17:18], v[17:18], v[19:20]
	v_fma_f64 v[19:20], v[73:74], s[16:17], v[15:16]
	v_add_f64 v[21:22], v[21:22], v[23:24]
	v_fma_f64 v[138:139], v[97:98], s[12:13], -v[5:6]
	v_fma_f64 v[140:141], v[97:98], s[12:13], v[5:6]
	v_fma_f64 v[142:143], v[97:98], s[16:17], -v[7:8]
	v_fma_f64 v[144:145], v[97:98], s[16:17], v[7:8]
	v_mul_f64 v[23:24], v[57:58], s[30:31]
	v_fma_f64 v[150:151], v[97:98], s[36:37], -v[93:94]
	v_fma_f64 v[162:163], v[59:60], s[22:23], v[134:135]
	v_add_f64 v[146:147], v[1:2], v[146:147]
	v_add_f64 v[172:173], v[1:2], v[105:106]
	;; [unrolled: 1-line block ×3, first 2 shown]
	v_fma_f64 v[13:14], v[77:78], s[16:17], v[13:14]
	v_fma_f64 v[15:16], v[73:74], s[16:17], -v[15:16]
	v_add_f64 v[5:6], v[9:10], v[89:90]
	v_add_f64 v[7:8], v[11:12], v[91:92]
	v_fma_f64 v[9:10], v[97:98], s[22:23], v[107:108]
	v_fma_f64 v[107:108], v[71:72], s[18:19], -v[128:129]
	v_fma_f64 v[11:12], v[97:98], s[20:21], -v[113:114]
	v_add_f64 v[17:18], v[95:96], v[17:18]
	v_fma_f64 v[95:96], v[67:68], s[18:19], v[130:131]
	v_add_f64 v[19:20], v[19:20], v[21:22]
	v_fma_f64 v[89:90], v[97:98], s[20:21], v[113:114]
	v_fma_f64 v[91:92], v[97:98], s[38:39], -v[115:116]
	v_fma_f64 v[113:114], v[97:98], s[38:39], v[115:116]
	v_fma_f64 v[21:22], v[99:100], s[24:25], -v[103:104]
	v_fma_f64 v[103:104], v[97:98], s[36:37], v[93:94]
	v_fma_f64 v[93:94], v[99:100], s[12:13], v[117:118]
	v_fma_f64 v[97:98], v[99:100], s[12:13], -v[117:118]
	v_fma_f64 v[115:116], v[99:100], s[16:17], v[119:120]
	v_fma_f64 v[117:118], v[99:100], s[16:17], -v[119:120]
	v_fma_f64 v[119:120], v[99:100], s[18:19], v[121:122]
	v_fma_f64 v[121:122], v[99:100], s[18:19], -v[121:122]
	v_fma_f64 v[154:155], v[99:100], s[36:37], v[87:88]
	v_fma_f64 v[156:157], v[99:100], s[36:37], -v[87:88]
	v_add_f64 v[138:139], v[1:2], v[138:139]
	v_add_f64 v[5:6], v[5:6], v[81:82]
	;; [unrolled: 1-line block ×3, first 2 shown]
	v_fma_f64 v[81:82], v[99:100], s[20:21], v[126:127]
	v_fma_f64 v[83:84], v[99:100], s[20:21], -v[126:127]
	v_fma_f64 v[126:127], v[99:100], s[38:39], v[85:86]
	v_fma_f64 v[85:86], v[99:100], s[38:39], -v[85:86]
	v_add_f64 v[17:18], v[107:108], v[17:18]
	v_add_f64 v[19:20], v[95:96], v[19:20]
	;; [unrolled: 1-line block ×26, first 2 shown]
	v_mul_f64 v[9:10], v[41:42], s[44:45]
	v_fma_f64 v[1:2], v[53:54], s[12:13], v[109:110]
	v_fma_f64 v[3:4], v[39:40], s[20:21], -v[23:24]
	v_add_f64 v[11:12], v[160:161], v[17:18]
	v_fma_f64 v[17:18], v[37:38], s[20:21], v[136:137]
	v_add_f64 v[19:20], v[162:163], v[19:20]
	v_fma_f64 v[103:104], v[25:26], s[12:13], -v[111:112]
	v_mul_f64 v[109:110], v[35:36], s[34:35]
	v_mul_f64 v[111:112], v[49:50], s[42:43]
	v_fma_f64 v[113:114], v[71:72], s[18:19], v[128:129]
	v_fma_f64 v[124:125], v[67:68], s[18:19], -v[130:131]
	v_fma_f64 v[126:127], v[59:60], s[22:23], -v[134:135]
	v_fma_f64 v[23:24], v[39:40], s[20:21], v[23:24]
	v_fma_f64 v[134:135], v[47:48], s[38:39], v[158:159]
	v_mul_f64 v[150:151], v[55:56], s[54:55]
	v_mul_f64 v[154:155], v[43:44], s[56:57]
	;; [unrolled: 1-line block ×3, first 2 shown]
	v_add_f64 v[1:2], v[1:2], v[101:102]
	v_fma_f64 v[101:102], v[47:48], s[38:39], -v[158:159]
	v_add_f64 v[3:4], v[3:4], v[11:12]
	v_fma_f64 v[11:12], v[45:46], s[38:39], v[9:10]
	v_add_f64 v[17:18], v[17:18], v[19:20]
	v_mul_f64 v[19:20], v[33:34], s[34:35]
	v_add_f64 v[21:22], v[103:104], v[21:22]
	v_mul_f64 v[103:104], v[63:64], s[42:43]
	v_fma_f64 v[9:10], v[45:46], s[38:39], -v[9:10]
	v_add_f64 v[13:14], v[13:14], v[1:2]
	v_add_f64 v[3:4], v[101:102], v[3:4]
	v_fma_f64 v[101:102], v[31:32], s[36:37], -v[109:110]
	v_add_f64 v[11:12], v[11:12], v[17:18]
	v_fma_f64 v[17:18], v[29:30], s[36:37], v[19:20]
	v_add_f64 v[15:16], v[15:16], v[21:22]
	v_mul_f64 v[21:22], v[55:56], s[30:31]
	v_fma_f64 v[19:20], v[29:30], s[36:37], -v[19:20]
	v_fma_f64 v[109:110], v[31:32], s[36:37], v[109:110]
	v_add_f64 v[13:14], v[113:114], v[13:14]
	v_fma_f64 v[113:114], v[61:62], s[22:23], v[132:133]
	v_fma_f64 v[132:133], v[37:38], s[20:21], -v[136:137]
	v_add_f64 v[1:2], v[101:102], v[3:4]
	v_mul_f64 v[101:102], v[51:52], s[30:31]
	v_add_f64 v[3:4], v[17:18], v[11:12]
	v_fma_f64 v[11:12], v[53:54], s[18:19], -v[103:104]
	v_fma_f64 v[17:18], v[25:26], s[18:19], v[111:112]
	v_add_f64 v[15:16], v[124:125], v[15:16]
	v_mul_f64 v[124:125], v[79:80], s[34:35]
	v_fma_f64 v[128:129], v[77:78], s[20:21], -v[21:22]
	v_mul_f64 v[136:137], v[43:44], s[48:49]
	v_fma_f64 v[111:112], v[25:26], s[18:19], -v[111:112]
	v_fma_f64 v[21:22], v[77:78], s[20:21], v[21:22]
	v_add_f64 v[13:14], v[113:114], v[13:14]
	v_mul_f64 v[113:114], v[75:76], s[34:35]
	v_fma_f64 v[130:131], v[73:74], s[20:21], v[101:102]
	v_fma_f64 v[101:102], v[73:74], s[20:21], -v[101:102]
	v_add_f64 v[11:12], v[11:12], v[138:139]
	v_add_f64 v[17:18], v[17:18], v[164:165]
	;; [unrolled: 1-line block ×3, first 2 shown]
	v_mul_f64 v[126:127], v[69:70], s[58:59]
	v_add_f64 v[111:112], v[111:112], v[166:167]
	v_add_f64 v[13:14], v[23:24], v[13:14]
	v_mul_f64 v[23:24], v[65:66], s[58:59]
	v_add_f64 v[11:12], v[128:129], v[11:12]
	v_fma_f64 v[128:129], v[71:72], s[36:37], -v[124:125]
	v_add_f64 v[17:18], v[130:131], v[17:18]
	v_fma_f64 v[130:131], v[67:68], s[36:37], v[113:114]
	v_add_f64 v[15:16], v[132:133], v[15:16]
	v_mul_f64 v[132:133], v[57:58], s[54:55]
	v_add_f64 v[101:102], v[101:102], v[111:112]
	v_mul_f64 v[111:112], v[51:52], s[50:51]
	v_fma_f64 v[124:125], v[71:72], s[36:37], v[124:125]
	v_fma_f64 v[113:114], v[67:68], s[36:37], -v[113:114]
	v_add_f64 v[13:14], v[134:135], v[13:14]
	v_fma_f64 v[134:135], v[59:60], s[38:39], v[23:24]
	v_fma_f64 v[23:24], v[59:60], s[38:39], -v[23:24]
	v_add_f64 v[11:12], v[128:129], v[11:12]
	v_mul_f64 v[128:129], v[27:28], s[54:55]
	v_add_f64 v[17:18], v[130:131], v[17:18]
	v_fma_f64 v[130:131], v[61:62], s[38:39], -v[126:127]
	v_add_f64 v[15:16], v[9:10], v[15:16]
	v_fma_f64 v[138:139], v[39:40], s[22:23], -v[132:133]
	v_fma_f64 v[126:127], v[61:62], s[38:39], v[126:127]
	v_fma_f64 v[132:133], v[39:40], s[22:23], v[132:133]
	v_add_f64 v[101:102], v[113:114], v[101:102]
	v_mul_f64 v[113:114], v[75:76], s[54:55]
	v_add_f64 v[9:10], v[109:110], v[13:14]
	v_mul_f64 v[109:110], v[35:36], s[52:53]
	v_add_f64 v[17:18], v[134:135], v[17:18]
	v_add_f64 v[130:131], v[130:131], v[11:12]
	v_fma_f64 v[134:135], v[37:38], s[22:23], v[128:129]
	v_add_f64 v[11:12], v[19:20], v[15:16]
	v_mul_f64 v[19:20], v[41:42], s[48:49]
	v_fma_f64 v[15:16], v[47:48], s[16:17], -v[136:137]
	v_add_f64 v[23:24], v[23:24], v[101:102]
	v_fma_f64 v[101:102], v[67:68], s[22:23], v[113:114]
	v_fma_f64 v[128:129], v[37:38], s[22:23], -v[128:129]
	v_fma_f64 v[136:137], v[47:48], s[16:17], v[136:137]
	v_fma_f64 v[113:114], v[67:68], s[22:23], -v[113:114]
	v_add_f64 v[13:14], v[138:139], v[130:131]
	v_add_f64 v[17:18], v[134:135], v[17:18]
	v_mul_f64 v[138:139], v[49:50], s[30:31]
	v_fma_f64 v[130:131], v[45:46], s[16:17], v[19:20]
	v_fma_f64 v[19:20], v[45:46], s[16:17], -v[19:20]
	v_add_f64 v[23:24], v[128:129], v[23:24]
	v_mul_f64 v[128:129], v[27:28], s[28:29]
	v_add_f64 v[13:14], v[15:16], v[13:14]
	v_fma_f64 v[15:16], v[31:32], s[24:25], -v[109:110]
	v_fma_f64 v[109:110], v[31:32], s[24:25], v[109:110]
	v_add_f64 v[17:18], v[130:131], v[17:18]
	v_mul_f64 v[130:131], v[33:34], s[52:53]
	v_add_f64 v[19:20], v[19:20], v[23:24]
	v_fma_f64 v[23:24], v[37:38], s[24:25], v[128:129]
	v_fma_f64 v[128:129], v[37:38], s[24:25], -v[128:129]
	v_add_f64 v[13:14], v[15:16], v[13:14]
	v_fma_f64 v[15:16], v[29:30], s[24:25], v[130:131]
	v_fma_f64 v[130:131], v[29:30], s[24:25], -v[130:131]
	v_add_f64 v[15:16], v[15:16], v[17:18]
	v_fma_f64 v[17:18], v[53:54], s[18:19], v[103:104]
	v_mul_f64 v[103:104], v[63:64], s[30:31]
	v_add_f64 v[19:20], v[130:131], v[19:20]
	ds_write_b128 v123, v[5:8]
	ds_write_b128 v123, v[1:4] offset:16
	ds_write_b128 v123, v[13:16] offset:32
	v_add_f64 v[17:18], v[17:18], v[140:141]
	v_fma_f64 v[134:135], v[53:54], s[20:21], -v[103:104]
	v_fma_f64 v[140:141], v[25:26], s[20:21], v[138:139]
	v_fma_f64 v[103:104], v[53:54], s[20:21], v[103:104]
	v_fma_f64 v[138:139], v[25:26], s[20:21], -v[138:139]
	v_add_f64 v[17:18], v[21:22], v[17:18]
	v_add_f64 v[134:135], v[134:135], v[142:143]
	v_mul_f64 v[142:143], v[55:56], s[50:51]
	v_add_f64 v[140:141], v[140:141], v[168:169]
	s_mov_b32 s51, 0x3fe58eea
	s_mov_b32 s50, s40
	v_add_f64 v[103:104], v[103:104], v[144:145]
	v_mul_f64 v[144:145], v[41:42], s[42:43]
	v_add_f64 v[17:18], v[124:125], v[17:18]
	v_mul_f64 v[124:125], v[79:80], s[54:55]
	v_fma_f64 v[21:22], v[77:78], s[36:37], -v[142:143]
	v_fma_f64 v[142:143], v[77:78], s[36:37], v[142:143]
	v_add_f64 v[17:18], v[126:127], v[17:18]
	v_fma_f64 v[126:127], v[71:72], s[22:23], -v[124:125]
	v_add_f64 v[21:22], v[21:22], v[134:135]
	v_fma_f64 v[134:135], v[73:74], s[36:37], v[111:112]
	v_fma_f64 v[111:112], v[73:74], s[36:37], -v[111:112]
	v_add_f64 v[103:104], v[142:143], v[103:104]
	v_fma_f64 v[124:125], v[71:72], s[22:23], v[124:125]
	v_mul_f64 v[142:143], v[63:64], s[34:35]
	v_add_f64 v[17:18], v[132:133], v[17:18]
	v_mul_f64 v[132:133], v[57:58], s[28:29]
	v_add_f64 v[21:22], v[126:127], v[21:22]
	v_add_f64 v[134:135], v[134:135], v[140:141]
	v_mul_f64 v[140:141], v[69:70], s[50:51]
	v_add_f64 v[103:104], v[124:125], v[103:104]
	v_fma_f64 v[124:125], v[53:54], s[36:37], -v[142:143]
	v_fma_f64 v[142:143], v[53:54], s[36:37], v[142:143]
	v_add_f64 v[17:18], v[136:137], v[17:18]
	v_fma_f64 v[136:137], v[39:40], s[24:25], -v[132:133]
	v_add_f64 v[101:102], v[101:102], v[134:135]
	v_fma_f64 v[126:127], v[61:62], s[12:13], -v[140:141]
	v_mul_f64 v[134:135], v[65:66], s[50:51]
	v_add_f64 v[124:125], v[124:125], v[146:147]
	v_mul_f64 v[146:147], v[79:80], s[52:53]
	v_add_f64 v[142:143], v[142:143], v[172:173]
	v_add_f64 v[17:18], v[109:110], v[17:18]
	v_mul_f64 v[109:110], v[35:36], s[44:45]
	v_add_f64 v[21:22], v[126:127], v[21:22]
	v_fma_f64 v[126:127], v[59:60], s[12:13], v[134:135]
	v_add_f64 v[21:22], v[136:137], v[21:22]
	v_add_f64 v[101:102], v[126:127], v[101:102]
	v_mul_f64 v[126:127], v[43:44], s[42:43]
	v_add_f64 v[136:137], v[138:139], v[170:171]
	v_fma_f64 v[138:139], v[45:46], s[18:19], v[144:145]
	v_fma_f64 v[144:145], v[45:46], s[18:19], -v[144:145]
	v_add_f64 v[23:24], v[23:24], v[101:102]
	v_fma_f64 v[130:131], v[47:48], s[18:19], -v[126:127]
	v_mul_f64 v[101:102], v[33:34], s[44:45]
	v_add_f64 v[111:112], v[111:112], v[136:137]
	v_add_f64 v[23:24], v[138:139], v[23:24]
	;; [unrolled: 1-line block ×3, first 2 shown]
	v_fma_f64 v[130:131], v[31:32], s[38:39], -v[109:110]
	v_fma_f64 v[136:137], v[29:30], s[38:39], v[101:102]
	v_mul_f64 v[138:139], v[49:50], s[34:35]
	v_add_f64 v[111:112], v[113:114], v[111:112]
	v_fma_f64 v[113:114], v[61:62], s[12:13], v[140:141]
	v_mul_f64 v[140:141], v[51:52], s[54:55]
	v_fma_f64 v[101:102], v[29:30], s[38:39], -v[101:102]
	v_add_f64 v[21:22], v[130:131], v[21:22]
	v_fma_f64 v[130:131], v[59:60], s[12:13], -v[134:135]
	v_add_f64 v[23:24], v[136:137], v[23:24]
	v_fma_f64 v[134:135], v[25:26], s[36:37], v[138:139]
	v_fma_f64 v[136:137], v[77:78], s[22:23], -v[150:151]
	v_add_f64 v[103:104], v[113:114], v[103:104]
	v_fma_f64 v[113:114], v[39:40], s[24:25], v[132:133]
	v_fma_f64 v[132:133], v[71:72], s[24:25], -v[146:147]
	v_fma_f64 v[138:139], v[25:26], s[36:37], -v[138:139]
	v_fma_f64 v[150:151], v[77:78], s[22:23], v[150:151]
	v_fma_f64 v[146:147], v[71:72], s[24:25], v[146:147]
	v_add_f64 v[111:112], v[130:131], v[111:112]
	v_fma_f64 v[130:131], v[73:74], s[22:23], v[140:141]
	v_add_f64 v[119:120], v[134:135], v[119:120]
	v_add_f64 v[124:125], v[136:137], v[124:125]
	v_mul_f64 v[134:135], v[75:76], s[52:53]
	v_mul_f64 v[136:137], v[69:70], s[46:47]
	v_add_f64 v[103:104], v[113:114], v[103:104]
	v_fma_f64 v[113:114], v[47:48], s[18:19], v[126:127]
	v_add_f64 v[121:122], v[138:139], v[121:122]
	v_fma_f64 v[138:139], v[47:48], s[20:21], -v[154:155]
	v_add_f64 v[142:143], v[150:151], v[142:143]
	v_fma_f64 v[140:141], v[73:74], s[22:23], -v[140:141]
	v_mul_f64 v[150:151], v[63:64], s[58:59]
	v_add_f64 v[111:112], v[128:129], v[111:112]
	v_add_f64 v[119:120], v[130:131], v[119:120]
	;; [unrolled: 1-line block ×3, first 2 shown]
	v_fma_f64 v[126:127], v[67:68], s[24:25], v[134:135]
	v_fma_f64 v[128:129], v[61:62], s[16:17], -v[136:137]
	v_mul_f64 v[130:131], v[65:66], s[46:47]
	v_mul_f64 v[132:133], v[57:58], s[44:45]
	v_add_f64 v[103:104], v[113:114], v[103:104]
	v_fma_f64 v[134:135], v[67:68], s[24:25], -v[134:135]
	v_fma_f64 v[136:137], v[61:62], s[16:17], v[136:137]
	v_add_f64 v[121:122], v[140:141], v[121:122]
	v_fma_f64 v[140:141], v[25:26], s[38:39], v[156:157]
	v_add_f64 v[111:112], v[144:145], v[111:112]
	v_add_f64 v[113:114], v[126:127], v[119:120]
	;; [unrolled: 1-line block ×3, first 2 shown]
	v_fma_f64 v[124:125], v[59:60], s[16:17], v[130:131]
	v_fma_f64 v[126:127], v[39:40], s[38:39], -v[132:133]
	v_mul_f64 v[128:129], v[27:28], s[44:45]
	v_fma_f64 v[130:131], v[59:60], s[16:17], -v[130:131]
	v_fma_f64 v[132:133], v[39:40], s[38:39], v[132:133]
	v_add_f64 v[121:122], v[134:135], v[121:122]
	v_add_f64 v[113:114], v[124:125], v[113:114]
	;; [unrolled: 1-line block ×3, first 2 shown]
	v_fma_f64 v[124:125], v[37:38], s[38:39], v[128:129]
	v_mul_f64 v[126:127], v[41:42], s[56:57]
	v_fma_f64 v[128:129], v[37:38], s[38:39], -v[128:129]
	v_add_f64 v[121:122], v[130:131], v[121:122]
	v_add_f64 v[124:125], v[124:125], v[113:114]
	v_fma_f64 v[144:145], v[45:46], s[20:21], v[126:127]
	v_add_f64 v[113:114], v[138:139], v[119:120]
	v_add_f64 v[138:139], v[146:147], v[142:143]
	v_mul_f64 v[142:143], v[55:56], s[50:51]
	v_mul_f64 v[146:147], v[79:80], s[46:47]
	v_add_f64 v[128:129], v[128:129], v[121:122]
	v_fma_f64 v[121:122], v[47:48], s[20:21], v[154:155]
	v_fma_f64 v[154:155], v[25:26], s[38:39], -v[156:157]
	v_fma_f64 v[126:127], v[45:46], s[20:21], -v[126:127]
	v_add_f64 v[119:120], v[144:145], v[124:125]
	v_fma_f64 v[124:125], v[53:54], s[38:39], -v[150:151]
	v_mul_f64 v[144:145], v[51:52], s[50:51]
	v_add_f64 v[134:135], v[136:137], v[138:139]
	v_add_f64 v[136:137], v[140:141], v[152:153]
	v_fma_f64 v[138:139], v[77:78], s[12:13], -v[142:143]
	v_fma_f64 v[142:143], v[77:78], s[12:13], v[142:143]
	v_add_f64 v[115:116], v[154:155], v[115:116]
	v_add_f64 v[126:127], v[126:127], v[128:129]
	v_mul_f64 v[154:155], v[49:50], s[54:55]
	v_add_f64 v[124:125], v[124:125], v[148:149]
	v_fma_f64 v[140:141], v[73:74], s[12:13], v[144:145]
	v_mul_f64 v[148:149], v[75:76], s[46:47]
	v_add_f64 v[132:133], v[132:133], v[134:135]
	v_mul_f64 v[134:135], v[65:66], s[34:35]
	s_mov_b32 s47, 0x3fefdd0d
	s_mov_b32 s46, s42
	v_fma_f64 v[144:145], v[73:74], s[12:13], -v[144:145]
	v_mul_f64 v[152:153], v[57:58], s[46:47]
	v_add_f64 v[124:125], v[138:139], v[124:125]
	v_add_f64 v[130:131], v[140:141], v[136:137]
	v_fma_f64 v[136:137], v[71:72], s[16:17], -v[146:147]
	v_fma_f64 v[138:139], v[67:68], s[16:17], v[148:149]
	v_mul_f64 v[140:141], v[69:70], s[34:35]
	v_add_f64 v[121:122], v[121:122], v[132:133]
	v_fma_f64 v[132:133], v[53:54], s[38:39], v[150:151]
	v_mul_f64 v[150:151], v[27:28], s[46:47]
	v_add_f64 v[115:116], v[144:145], v[115:116]
	v_fma_f64 v[144:145], v[25:26], s[22:23], v[154:155]
	v_fma_f64 v[154:155], v[25:26], s[22:23], -v[154:155]
	v_add_f64 v[124:125], v[136:137], v[124:125]
	v_add_f64 v[130:131], v[138:139], v[130:131]
	v_fma_f64 v[136:137], v[61:62], s[36:37], -v[140:141]
	v_fma_f64 v[138:139], v[59:60], s[36:37], v[134:135]
	v_add_f64 v[117:118], v[132:133], v[117:118]
	v_fma_f64 v[132:133], v[37:38], s[18:19], v[150:151]
	v_fma_f64 v[134:135], v[59:60], s[36:37], -v[134:135]
	v_add_f64 v[107:108], v[144:145], v[107:108]
	v_mul_f64 v[144:145], v[75:76], s[44:45]
	v_fma_f64 v[150:151], v[37:38], s[18:19], -v[150:151]
	v_add_f64 v[97:98], v[154:155], v[97:98]
	v_add_f64 v[124:125], v[136:137], v[124:125]
	;; [unrolled: 1-line block ×3, first 2 shown]
	v_fma_f64 v[136:137], v[39:40], s[18:19], -v[152:153]
	v_mul_f64 v[138:139], v[43:44], s[28:29]
	v_add_f64 v[117:118], v[142:143], v[117:118]
	v_fma_f64 v[142:143], v[67:68], s[16:17], -v[148:149]
	v_mul_f64 v[148:149], v[51:52], s[28:29]
	v_fma_f64 v[152:153], v[39:40], s[18:19], v[152:153]
	v_add_f64 v[130:131], v[132:133], v[130:131]
	v_add_f64 v[124:125], v[136:137], v[124:125]
	v_fma_f64 v[128:129], v[47:48], s[24:25], -v[138:139]
	v_mul_f64 v[136:137], v[63:64], s[54:55]
	v_fma_f64 v[132:133], v[71:72], s[16:17], v[146:147]
	v_mul_f64 v[146:147], v[55:56], s[28:29]
	v_add_f64 v[115:116], v[142:143], v[115:116]
	v_mul_f64 v[142:143], v[79:80], s[44:45]
	v_fma_f64 v[138:139], v[47:48], s[24:25], v[138:139]
	v_add_f64 v[124:125], v[128:129], v[124:125]
	v_fma_f64 v[128:129], v[53:54], s[22:23], -v[136:137]
	v_add_f64 v[117:118], v[132:133], v[117:118]
	v_fma_f64 v[132:133], v[61:62], s[36:37], v[140:141]
	v_fma_f64 v[140:141], v[73:74], s[24:25], v[148:149]
	;; [unrolled: 1-line block ×3, first 2 shown]
	v_add_f64 v[115:116], v[134:135], v[115:116]
	v_mul_f64 v[134:135], v[65:66], s[46:47]
	v_fma_f64 v[148:149], v[73:74], s[24:25], -v[148:149]
	v_add_f64 v[105:106], v[128:129], v[105:106]
	v_fma_f64 v[128:129], v[77:78], s[24:25], -v[146:147]
	v_add_f64 v[117:118], v[132:133], v[117:118]
	v_mul_f64 v[132:133], v[41:42], s[28:29]
	v_add_f64 v[107:108], v[140:141], v[107:108]
	v_fma_f64 v[140:141], v[67:68], s[38:39], v[144:145]
	v_add_f64 v[99:100], v[136:137], v[99:100]
	v_mul_f64 v[136:137], v[69:70], s[46:47]
	v_fma_f64 v[146:147], v[77:78], s[24:25], v[146:147]
	v_fma_f64 v[154:155], v[59:60], s[18:19], v[134:135]
	v_add_f64 v[115:116], v[150:151], v[115:116]
	v_mul_f64 v[150:151], v[57:58], s[40:41]
	v_add_f64 v[97:98], v[148:149], v[97:98]
	v_fma_f64 v[144:145], v[67:68], s[38:39], -v[144:145]
	v_add_f64 v[105:106], v[128:129], v[105:106]
	v_fma_f64 v[128:129], v[71:72], s[38:39], -v[142:143]
	v_add_f64 v[117:118], v[152:153], v[117:118]
	v_fma_f64 v[152:153], v[45:46], s[24:25], v[132:133]
	v_add_f64 v[107:108], v[140:141], v[107:108]
	v_mul_f64 v[140:141], v[63:64], s[48:49]
	v_mul_f64 v[63:64], v[63:64], s[52:53]
	v_add_f64 v[99:100], v[146:147], v[99:100]
	v_mul_f64 v[146:147], v[49:50], s[48:49]
	v_mul_f64 v[49:50], v[49:50], s[52:53]
	v_fma_f64 v[142:143], v[71:72], s[38:39], v[142:143]
	v_add_f64 v[105:106], v[128:129], v[105:106]
	v_fma_f64 v[128:129], v[61:62], s[18:19], -v[136:137]
	v_add_f64 v[130:131], v[152:153], v[130:131]
	v_add_f64 v[117:118], v[138:139], v[117:118]
	v_fma_f64 v[138:139], v[53:54], s[16:17], -v[140:141]
	v_add_f64 v[107:108], v[154:155], v[107:108]
	v_mul_f64 v[152:153], v[55:56], s[42:43]
	v_mul_f64 v[154:155], v[51:52], s[42:43]
	v_fma_f64 v[140:141], v[53:54], s[16:17], v[140:141]
	v_fma_f64 v[148:149], v[53:54], s[24:25], -v[63:64]
	v_mul_f64 v[55:56], v[55:56], s[44:45]
	v_fma_f64 v[53:54], v[53:54], s[24:25], v[63:64]
	v_fma_f64 v[63:64], v[25:26], s[24:25], v[49:50]
	v_mul_f64 v[51:52], v[51:52], s[44:45]
	v_add_f64 v[99:100], v[142:143], v[99:100]
	v_mul_f64 v[142:143], v[27:28], s[40:41]
	v_fma_f64 v[136:137], v[61:62], s[18:19], v[136:137]
	v_add_f64 v[105:106], v[128:129], v[105:106]
	v_fma_f64 v[128:129], v[25:26], s[16:17], v[146:147]
	v_fma_f64 v[146:147], v[25:26], s[16:17], -v[146:147]
	v_fma_f64 v[25:26], v[25:26], s[24:25], -v[49:50]
	v_add_f64 v[95:96], v[138:139], v[95:96]
	v_fma_f64 v[138:139], v[39:40], s[12:13], -v[150:151]
	v_fma_f64 v[49:50], v[77:78], s[18:19], -v[152:153]
	v_add_f64 v[89:90], v[140:141], v[89:90]
	v_fma_f64 v[140:141], v[77:78], s[18:19], v[152:153]
	v_mul_f64 v[152:153], v[75:76], s[56:57]
	v_add_f64 v[87:88], v[148:149], v[87:88]
	v_fma_f64 v[148:149], v[77:78], s[38:39], -v[55:56]
	v_add_f64 v[63:64], v[63:64], v[85:86]
	v_add_f64 v[53:54], v[53:54], v[83:84]
	v_fma_f64 v[83:84], v[73:74], s[38:39], v[51:52]
	v_mul_f64 v[75:76], v[75:76], s[50:51]
	v_fma_f64 v[55:56], v[77:78], s[38:39], v[55:56]
	v_fma_f64 v[51:52], v[73:74], s[38:39], -v[51:52]
	v_fma_f64 v[85:86], v[37:38], s[12:13], v[142:143]
	v_add_f64 v[99:100], v[136:137], v[99:100]
	v_add_f64 v[93:94], v[128:129], v[93:94]
	v_fma_f64 v[128:129], v[73:74], s[18:19], v[154:155]
	v_add_f64 v[91:92], v[146:147], v[91:92]
	v_mul_f64 v[146:147], v[79:80], s[56:57]
	v_fma_f64 v[154:155], v[73:74], s[18:19], -v[154:155]
	v_mul_f64 v[79:80], v[79:80], s[50:51]
	v_add_f64 v[25:26], v[25:26], v[81:82]
	v_add_f64 v[77:78], v[138:139], v[105:106]
	;; [unrolled: 1-line block ×3, first 2 shown]
	v_fma_f64 v[81:82], v[59:60], s[18:19], -v[134:135]
	v_add_f64 v[49:50], v[49:50], v[95:96]
	v_fma_f64 v[97:98], v[67:68], s[20:21], v[152:153]
	v_add_f64 v[89:90], v[140:141], v[89:90]
	v_add_f64 v[87:88], v[148:149], v[87:88]
	v_fma_f64 v[134:135], v[67:68], s[20:21], -v[152:153]
	v_mul_f64 v[138:139], v[65:66], s[28:29]
	v_add_f64 v[63:64], v[83:84], v[63:64]
	v_fma_f64 v[83:84], v[67:68], s[12:13], v[75:76]
	v_add_f64 v[53:54], v[55:56], v[53:54]
	v_mul_f64 v[65:66], v[65:66], s[30:31]
	v_add_f64 v[85:86], v[85:86], v[107:108]
	v_add_f64 v[93:94], v[128:129], v[93:94]
	v_mul_f64 v[128:129], v[69:70], s[28:29]
	v_fma_f64 v[95:96], v[71:72], s[20:21], -v[146:147]
	v_add_f64 v[91:92], v[154:155], v[91:92]
	v_fma_f64 v[105:106], v[71:72], s[20:21], v[146:147]
	v_fma_f64 v[140:141], v[71:72], s[12:13], -v[79:80]
	v_fma_f64 v[55:56], v[71:72], s[12:13], v[79:80]
	v_mul_f64 v[69:70], v[69:70], s[30:31]
	v_add_f64 v[25:26], v[51:52], v[25:26]
	v_fma_f64 v[51:52], v[67:68], s[12:13], -v[75:76]
	v_add_f64 v[67:68], v[81:82], v[73:74]
	v_fma_f64 v[79:80], v[31:32], s[38:39], v[109:110]
	v_fma_f64 v[81:82], v[39:40], s[12:13], v[150:151]
	v_fma_f64 v[109:110], v[37:38], s[12:13], -v[142:143]
	v_fma_f64 v[107:108], v[59:60], s[24:25], -v[138:139]
	v_mul_f64 v[71:72], v[35:36], s[50:51]
	v_add_f64 v[63:64], v[83:84], v[63:64]
	v_mul_f64 v[83:84], v[27:28], s[34:35]
	v_mul_f64 v[27:28], v[27:28], s[48:49]
	;; [unrolled: 1-line block ×3, first 2 shown]
	v_add_f64 v[73:74], v[97:98], v[93:94]
	v_fma_f64 v[93:94], v[61:62], s[24:25], -v[128:129]
	v_add_f64 v[49:50], v[95:96], v[49:50]
	v_add_f64 v[91:92], v[134:135], v[91:92]
	;; [unrolled: 1-line block ×3, first 2 shown]
	v_fma_f64 v[95:96], v[59:60], s[24:25], v[138:139]
	v_add_f64 v[87:88], v[140:141], v[87:88]
	v_mul_f64 v[97:98], v[57:58], s[34:35]
	v_fma_f64 v[105:106], v[61:62], s[24:25], v[128:129]
	v_add_f64 v[53:54], v[55:56], v[53:54]
	v_fma_f64 v[55:56], v[61:62], s[20:21], -v[69:70]
	v_add_f64 v[25:26], v[51:52], v[25:26]
	v_fma_f64 v[51:52], v[59:60], s[20:21], v[65:66]
	v_fma_f64 v[61:62], v[61:62], s[20:21], v[69:70]
	v_mul_f64 v[57:58], v[57:58], s[48:49]
	v_fma_f64 v[59:60], v[59:60], s[20:21], -v[65:66]
	v_add_f64 v[81:82], v[81:82], v[99:100]
	v_fma_f64 v[128:129], v[45:46], s[24:25], -v[132:133]
	v_add_f64 v[67:68], v[109:110], v[67:68]
	v_mul_f64 v[99:100], v[35:36], s[30:31]
	v_fma_f64 v[69:70], v[31:32], s[12:13], -v[71:72]
	v_fma_f64 v[65:66], v[29:30], s[12:13], v[75:76]
	v_fma_f64 v[71:72], v[31:32], s[12:13], v[71:72]
	v_fma_f64 v[75:76], v[29:30], s[12:13], -v[75:76]
	v_add_f64 v[49:50], v[93:94], v[49:50]
	v_mul_f64 v[93:94], v[43:44], s[34:35]
	v_add_f64 v[91:92], v[107:108], v[91:92]
	v_add_f64 v[73:74], v[95:96], v[73:74]
	v_mul_f64 v[95:96], v[41:42], s[34:35]
	v_fma_f64 v[107:108], v[37:38], s[36:37], v[83:84]
	v_add_f64 v[89:90], v[105:106], v[89:90]
	v_fma_f64 v[105:106], v[39:40], s[36:37], -v[97:98]
	v_add_f64 v[55:56], v[55:56], v[87:88]
	v_mul_f64 v[87:88], v[43:44], s[50:51]
	v_fma_f64 v[97:98], v[39:40], s[36:37], v[97:98]
	v_add_f64 v[51:52], v[51:52], v[63:64]
	v_mul_f64 v[63:64], v[41:42], s[50:51]
	v_fma_f64 v[83:84], v[37:38], s[36:37], -v[83:84]
	v_add_f64 v[53:54], v[61:62], v[53:54]
	v_fma_f64 v[61:62], v[39:40], s[16:17], -v[57:58]
	v_add_f64 v[25:26], v[59:60], v[25:26]
	v_fma_f64 v[59:60], v[37:38], s[16:17], v[27:28]
	v_fma_f64 v[39:40], v[39:40], s[16:17], v[57:58]
	v_mul_f64 v[43:44], v[43:44], s[26:27]
	v_fma_f64 v[27:28], v[37:38], s[16:17], -v[27:28]
	v_mul_f64 v[41:42], v[41:42], s[26:27]
	v_mul_f64 v[57:58], v[33:34], s[30:31]
	v_fma_f64 v[37:38], v[47:48], s[36:37], -v[93:94]
	v_fma_f64 v[93:94], v[47:48], s[36:37], v[93:94]
	v_add_f64 v[115:116], v[128:129], v[115:116]
	v_fma_f64 v[109:110], v[45:46], s[36:37], v[95:96]
	v_add_f64 v[73:74], v[107:108], v[73:74]
	v_mul_f64 v[107:108], v[33:34], s[48:49]
	v_add_f64 v[49:50], v[105:106], v[49:50]
	v_mul_f64 v[105:106], v[35:36], s[48:49]
	v_fma_f64 v[95:96], v[45:46], s[36:37], -v[95:96]
	v_add_f64 v[89:90], v[97:98], v[89:90]
	v_fma_f64 v[97:98], v[47:48], s[12:13], -v[87:88]
	v_fma_f64 v[87:88], v[47:48], s[12:13], v[87:88]
	v_add_f64 v[83:84], v[83:84], v[91:92]
	v_fma_f64 v[91:92], v[45:46], s[12:13], v[63:64]
	v_add_f64 v[55:56], v[61:62], v[55:56]
	v_mul_f64 v[61:62], v[35:36], s[26:27]
	v_add_f64 v[51:52], v[59:60], v[51:52]
	v_mul_f64 v[59:60], v[33:34], s[26:27]
	v_fma_f64 v[63:64], v[45:46], s[12:13], -v[63:64]
	v_add_f64 v[39:40], v[39:40], v[53:54]
	v_fma_f64 v[53:54], v[47:48], s[22:23], -v[43:44]
	v_add_f64 v[25:26], v[27:28], v[25:26]
	v_fma_f64 v[27:28], v[45:46], s[22:23], v[41:42]
	v_mul_f64 v[35:36], v[35:36], s[46:47]
	v_mul_f64 v[33:34], v[33:34], s[46:47]
	v_fma_f64 v[43:44], v[47:48], s[22:23], v[43:44]
	v_fma_f64 v[41:42], v[45:46], s[22:23], -v[41:42]
	v_add_f64 v[85:86], v[109:110], v[85:86]
	v_fma_f64 v[128:129], v[29:30], s[16:17], v[107:108]
	v_fma_f64 v[109:110], v[31:32], s[16:17], -v[105:106]
	v_add_f64 v[81:82], v[93:94], v[81:82]
	v_add_f64 v[93:94], v[95:96], v[67:68]
	;; [unrolled: 1-line block ×3, first 2 shown]
	v_fma_f64 v[105:106], v[31:32], s[16:17], v[105:106]
	v_fma_f64 v[107:108], v[29:30], s[16:17], -v[107:108]
	v_add_f64 v[73:74], v[91:92], v[73:74]
	v_fma_f64 v[47:48], v[31:32], s[20:21], -v[99:100]
	v_fma_f64 v[91:92], v[31:32], s[22:23], -v[61:62]
	v_fma_f64 v[45:46], v[29:30], s[20:21], v[57:58]
	v_fma_f64 v[95:96], v[29:30], s[22:23], v[59:60]
	;; [unrolled: 1-line block ×3, first 2 shown]
	v_add_f64 v[87:88], v[87:88], v[89:90]
	v_add_f64 v[83:84], v[63:64], v[83:84]
	v_fma_f64 v[61:62], v[31:32], s[22:23], v[61:62]
	v_add_f64 v[63:64], v[53:54], v[55:56]
	v_add_f64 v[89:90], v[27:28], v[51:52]
	v_fma_f64 v[97:98], v[31:32], s[18:19], -v[35:36]
	v_fma_f64 v[132:133], v[29:30], s[18:19], v[33:34]
	v_fma_f64 v[142:143], v[29:30], s[20:21], -v[57:58]
	v_add_f64 v[77:78], v[37:38], v[77:78]
	v_add_f64 v[134:135], v[43:44], v[39:40]
	;; [unrolled: 1-line block ×3, first 2 shown]
	v_fma_f64 v[36:37], v[31:32], s[18:19], v[35:36]
	v_fma_f64 v[138:139], v[29:30], s[18:19], -v[33:34]
	v_fma_f64 v[140:141], v[29:30], s[22:23], -v[59:60]
	v_mul_hi_u32 v25, 0x2222223, v0
	v_add_f64 v[30:31], v[69:70], v[113:114]
	v_add_f64 v[32:33], v[65:66], v[119:120]
	;; [unrolled: 1-line block ×7, first 2 shown]
	v_mul_u32_u24_e32 v1, 0x78, v25
	v_add_f64 v[40:41], v[45:46], v[130:131]
	v_add_f64 v[42:43], v[99:100], v[117:118]
	;; [unrolled: 1-line block ×15, first 2 shown]
	v_sub_nc_u32_e32 v0, v0, v1
	ds_write_b128 v123, v[21:24] offset:48
	ds_write_b128 v123, v[30:33] offset:64
	;; [unrolled: 1-line block ×4, first 2 shown]
	v_add_nc_u32_e32 v1, s33, v0
	ds_write_b128 v123, v[50:53] offset:112
	ds_write_b128 v123, v[58:61] offset:128
	;; [unrolled: 1-line block ×10, first 2 shown]
	s_waitcnt lgkmcnt(0)
	v_cmp_gt_u32_e32 vcc_lo, s10, v1
	s_barrier
	buffer_gl0_inv
	s_or_b32 s3, s3, vcc_lo
	s_and_saveexec_b32 s10, s3
	s_cbranch_execz .LBB0_12
; %bb.11:
	s_load_dwordx2 s[4:5], s[4:5], 0x60
	v_mad_u64_u32 v[1:2], null, s0, v0, 0
	s_mul_i32 s3, s1, s33
	s_mul_hi_u32 s10, s0, s33
	s_mul_i32 s0, s0, s33
	s_mul_i32 s9, s9, s11
	s_mul_hi_u32 s12, s8, s11
	s_mul_i32 s6, s6, s14
	v_mad_u64_u32 v[2:3], null, s1, v0, v[2:3]
	s_add_i32 s1, s10, s3
	v_mul_lo_u32 v20, v25, s2
	s_lshl_b64 s[0:1], s[0:1], 4
	s_add_i32 s9, s12, s9
	s_mul_i32 s8, s8, s11
	v_mov_b32_e32 v21, 0
	v_mul_i32_i24_e32 v3, 0x110, v0
	v_lshlrev_b32_e32 v4, 4, v25
	v_lshlrev_b64 v[0:1], 4, v[1:2]
	s_waitcnt lgkmcnt(0)
	s_add_u32 s3, s4, s0
	s_addc_u32 s4, s5, s1
	s_lshl_b64 s[0:1], s[6:7], 4
	v_add3_u32 v28, 0, v3, v4
	s_add_u32 s3, s3, s0
	s_addc_u32 s4, s4, s1
	s_lshl_b64 s[0:1], s[8:9], 4
	v_lshlrev_b64 v[2:3], 4, v[20:21]
	s_add_u32 s0, s3, s0
	s_addc_u32 s1, s4, s1
	v_add_co_u32 v30, vcc_lo, s0, v0
	v_add_co_ci_u32_e32 v31, vcc_lo, s1, v1, vcc_lo
	v_add_nc_u32_e32 v20, s2, v20
	v_add_co_u32 v16, vcc_lo, v30, v2
	v_add_co_ci_u32_e32 v17, vcc_lo, v31, v3, vcc_lo
	v_lshlrev_b64 v[18:19], 4, v[20:21]
	v_add_nc_u32_e32 v20, s2, v20
	ds_read_b128 v[0:3], v28
	ds_read_b128 v[4:7], v28 offset:16
	ds_read_b128 v[8:11], v28 offset:32
	;; [unrolled: 1-line block ×3, first 2 shown]
	v_lshlrev_b64 v[22:23], 4, v[20:21]
	v_add_nc_u32_e32 v20, s2, v20
	v_add_co_u32 v18, vcc_lo, v30, v18
	v_add_co_ci_u32_e32 v19, vcc_lo, v31, v19, vcc_lo
	v_lshlrev_b64 v[24:25], 4, v[20:21]
	v_add_nc_u32_e32 v20, s2, v20
	v_add_co_u32 v22, vcc_lo, v30, v22
	v_add_co_ci_u32_e32 v23, vcc_lo, v31, v23, vcc_lo
	v_add_co_u32 v24, vcc_lo, v30, v24
	v_lshlrev_b64 v[26:27], 4, v[20:21]
	v_add_nc_u32_e32 v20, s2, v20
	v_add_co_ci_u32_e32 v25, vcc_lo, v31, v25, vcc_lo
	s_waitcnt lgkmcnt(3)
	global_store_dwordx4 v[16:17], v[0:3], off
	s_waitcnt lgkmcnt(2)
	global_store_dwordx4 v[18:19], v[4:7], off
	;; [unrolled: 2-line block ×4, first 2 shown]
	ds_read_b128 v[0:3], v28 offset:64
	ds_read_b128 v[4:7], v28 offset:80
	v_lshlrev_b64 v[16:17], 4, v[20:21]
	v_add_nc_u32_e32 v20, s2, v20
	ds_read_b128 v[8:11], v28 offset:96
	ds_read_b128 v[12:15], v28 offset:112
	v_add_co_u32 v18, vcc_lo, v30, v26
	v_add_co_ci_u32_e32 v19, vcc_lo, v31, v27, vcc_lo
	v_lshlrev_b64 v[22:23], 4, v[20:21]
	v_add_nc_u32_e32 v20, s2, v20
	v_add_co_u32 v16, vcc_lo, v30, v16
	v_add_co_ci_u32_e32 v17, vcc_lo, v31, v17, vcc_lo
	v_lshlrev_b64 v[24:25], 4, v[20:21]
	v_add_nc_u32_e32 v20, s2, v20
	v_add_co_u32 v22, vcc_lo, v30, v22
	v_add_co_ci_u32_e32 v23, vcc_lo, v31, v23, vcc_lo
	v_add_co_u32 v24, vcc_lo, v30, v24
	v_lshlrev_b64 v[26:27], 4, v[20:21]
	v_add_nc_u32_e32 v20, s2, v20
	v_add_co_ci_u32_e32 v25, vcc_lo, v31, v25, vcc_lo
	s_waitcnt lgkmcnt(3)
	global_store_dwordx4 v[18:19], v[0:3], off
	s_waitcnt lgkmcnt(2)
	global_store_dwordx4 v[16:17], v[4:7], off
	;; [unrolled: 2-line block ×4, first 2 shown]
	ds_read_b128 v[0:3], v28 offset:128
	ds_read_b128 v[4:7], v28 offset:144
	v_lshlrev_b64 v[16:17], 4, v[20:21]
	v_add_nc_u32_e32 v20, s2, v20
	ds_read_b128 v[8:11], v28 offset:160
	ds_read_b128 v[12:15], v28 offset:176
	v_add_co_u32 v18, vcc_lo, v30, v26
	v_add_co_ci_u32_e32 v19, vcc_lo, v31, v27, vcc_lo
	v_lshlrev_b64 v[22:23], 4, v[20:21]
	v_add_nc_u32_e32 v20, s2, v20
	v_add_co_u32 v16, vcc_lo, v30, v16
	v_add_co_ci_u32_e32 v17, vcc_lo, v31, v17, vcc_lo
	v_lshlrev_b64 v[24:25], 4, v[20:21]
	v_add_nc_u32_e32 v20, s2, v20
	;; [unrolled: 4-line block ×3, first 2 shown]
	v_add_co_u32 v24, vcc_lo, v30, v24
	v_add_co_ci_u32_e32 v25, vcc_lo, v31, v25, vcc_lo
	s_waitcnt lgkmcnt(3)
	global_store_dwordx4 v[18:19], v[0:3], off
	s_waitcnt lgkmcnt(2)
	global_store_dwordx4 v[16:17], v[4:7], off
	;; [unrolled: 2-line block ×4, first 2 shown]
	v_lshlrev_b64 v[8:9], 4, v[20:21]
	v_add_co_u32 v22, vcc_lo, v30, v26
	v_add_nc_u32_e32 v20, s2, v20
	v_add_co_ci_u32_e32 v23, vcc_lo, v31, v27, vcc_lo
	v_add_co_u32 v26, vcc_lo, v30, v8
	ds_read_b128 v[0:3], v28 offset:192
	ds_read_b128 v[4:7], v28 offset:208
	v_add_co_ci_u32_e32 v27, vcc_lo, v31, v9, vcc_lo
	ds_read_b128 v[8:11], v28 offset:224
	ds_read_b128 v[12:15], v28 offset:240
	;; [unrolled: 1-line block ×3, first 2 shown]
	v_lshlrev_b64 v[24:25], 4, v[20:21]
	v_add_nc_u32_e32 v20, s2, v20
	v_lshlrev_b64 v[28:29], 4, v[20:21]
	v_add_nc_u32_e32 v20, s2, v20
	v_add_co_u32 v24, vcc_lo, v30, v24
	v_add_co_ci_u32_e32 v25, vcc_lo, v31, v25, vcc_lo
	v_lshlrev_b64 v[20:21], 4, v[20:21]
	v_add_co_u32 v28, vcc_lo, v30, v28
	v_add_co_ci_u32_e32 v29, vcc_lo, v31, v29, vcc_lo
	v_add_co_u32 v20, vcc_lo, v30, v20
	v_add_co_ci_u32_e32 v21, vcc_lo, v31, v21, vcc_lo
	s_waitcnt lgkmcnt(4)
	global_store_dwordx4 v[22:23], v[0:3], off
	s_waitcnt lgkmcnt(3)
	global_store_dwordx4 v[26:27], v[4:7], off
	;; [unrolled: 2-line block ×5, first 2 shown]
.LBB0_12:
	s_endpgm
	.section	.rodata,"a",@progbits
	.p2align	6, 0x0
	.amdhsa_kernel fft_rtc_fwd_len17_factors_17_wgs_120_tpt_1_dp_op_CI_CI_sbrc_xy_z_unaligned
		.amdhsa_group_segment_fixed_size 0
		.amdhsa_private_segment_fixed_size 0
		.amdhsa_kernarg_size 104
		.amdhsa_user_sgpr_count 6
		.amdhsa_user_sgpr_private_segment_buffer 1
		.amdhsa_user_sgpr_dispatch_ptr 0
		.amdhsa_user_sgpr_queue_ptr 0
		.amdhsa_user_sgpr_kernarg_segment_ptr 1
		.amdhsa_user_sgpr_dispatch_id 0
		.amdhsa_user_sgpr_flat_scratch_init 0
		.amdhsa_user_sgpr_private_segment_size 0
		.amdhsa_wavefront_size32 1
		.amdhsa_uses_dynamic_stack 0
		.amdhsa_system_sgpr_private_segment_wavefront_offset 0
		.amdhsa_system_sgpr_workgroup_id_x 1
		.amdhsa_system_sgpr_workgroup_id_y 0
		.amdhsa_system_sgpr_workgroup_id_z 0
		.amdhsa_system_sgpr_workgroup_info 0
		.amdhsa_system_vgpr_workitem_id 0
		.amdhsa_next_free_vgpr 174
		.amdhsa_next_free_sgpr 60
		.amdhsa_reserve_vcc 1
		.amdhsa_reserve_flat_scratch 0
		.amdhsa_float_round_mode_32 0
		.amdhsa_float_round_mode_16_64 0
		.amdhsa_float_denorm_mode_32 3
		.amdhsa_float_denorm_mode_16_64 3
		.amdhsa_dx10_clamp 1
		.amdhsa_ieee_mode 1
		.amdhsa_fp16_overflow 0
		.amdhsa_workgroup_processor_mode 1
		.amdhsa_memory_ordered 1
		.amdhsa_forward_progress 0
		.amdhsa_shared_vgpr_count 0
		.amdhsa_exception_fp_ieee_invalid_op 0
		.amdhsa_exception_fp_denorm_src 0
		.amdhsa_exception_fp_ieee_div_zero 0
		.amdhsa_exception_fp_ieee_overflow 0
		.amdhsa_exception_fp_ieee_underflow 0
		.amdhsa_exception_fp_ieee_inexact 0
		.amdhsa_exception_int_div_zero 0
	.end_amdhsa_kernel
	.text
.Lfunc_end0:
	.size	fft_rtc_fwd_len17_factors_17_wgs_120_tpt_1_dp_op_CI_CI_sbrc_xy_z_unaligned, .Lfunc_end0-fft_rtc_fwd_len17_factors_17_wgs_120_tpt_1_dp_op_CI_CI_sbrc_xy_z_unaligned
                                        ; -- End function
	.section	.AMDGPU.csdata,"",@progbits
; Kernel info:
; codeLenInByte = 10424
; NumSgprs: 62
; NumVgprs: 174
; ScratchSize: 0
; MemoryBound: 0
; FloatMode: 240
; IeeeMode: 1
; LDSByteSize: 0 bytes/workgroup (compile time only)
; SGPRBlocks: 7
; VGPRBlocks: 21
; NumSGPRsForWavesPerEU: 62
; NumVGPRsForWavesPerEU: 174
; Occupancy: 5
; WaveLimiterHint : 1
; COMPUTE_PGM_RSRC2:SCRATCH_EN: 0
; COMPUTE_PGM_RSRC2:USER_SGPR: 6
; COMPUTE_PGM_RSRC2:TRAP_HANDLER: 0
; COMPUTE_PGM_RSRC2:TGID_X_EN: 1
; COMPUTE_PGM_RSRC2:TGID_Y_EN: 0
; COMPUTE_PGM_RSRC2:TGID_Z_EN: 0
; COMPUTE_PGM_RSRC2:TIDIG_COMP_CNT: 0
	.text
	.p2alignl 6, 3214868480
	.fill 48, 4, 3214868480
	.type	__hip_cuid_d5d152d29283b69e,@object ; @__hip_cuid_d5d152d29283b69e
	.section	.bss,"aw",@nobits
	.globl	__hip_cuid_d5d152d29283b69e
__hip_cuid_d5d152d29283b69e:
	.byte	0                               ; 0x0
	.size	__hip_cuid_d5d152d29283b69e, 1

	.ident	"AMD clang version 19.0.0git (https://github.com/RadeonOpenCompute/llvm-project roc-6.4.0 25133 c7fe45cf4b819c5991fe208aaa96edf142730f1d)"
	.section	".note.GNU-stack","",@progbits
	.addrsig
	.addrsig_sym __hip_cuid_d5d152d29283b69e
	.amdgpu_metadata
---
amdhsa.kernels:
  - .args:
      - .actual_access:  read_only
        .address_space:  global
        .offset:         0
        .size:           8
        .value_kind:     global_buffer
      - .offset:         8
        .size:           8
        .value_kind:     by_value
      - .actual_access:  read_only
        .address_space:  global
        .offset:         16
        .size:           8
        .value_kind:     global_buffer
      - .actual_access:  read_only
        .address_space:  global
        .offset:         24
        .size:           8
        .value_kind:     global_buffer
      - .actual_access:  read_only
        .address_space:  global
        .offset:         32
        .size:           8
        .value_kind:     global_buffer
      - .offset:         40
        .size:           8
        .value_kind:     by_value
      - .actual_access:  read_only
        .address_space:  global
        .offset:         48
        .size:           8
        .value_kind:     global_buffer
      - .actual_access:  read_only
        .address_space:  global
        .offset:         56
        .size:           8
        .value_kind:     global_buffer
      - .offset:         64
        .size:           4
        .value_kind:     by_value
      - .actual_access:  read_only
        .address_space:  global
        .offset:         72
        .size:           8
        .value_kind:     global_buffer
      - .actual_access:  read_only
        .address_space:  global
        .offset:         80
        .size:           8
        .value_kind:     global_buffer
      - .actual_access:  read_only
        .address_space:  global
        .offset:         88
        .size:           8
        .value_kind:     global_buffer
      - .actual_access:  write_only
        .address_space:  global
        .offset:         96
        .size:           8
        .value_kind:     global_buffer
    .group_segment_fixed_size: 0
    .kernarg_segment_align: 8
    .kernarg_segment_size: 104
    .language:       OpenCL C
    .language_version:
      - 2
      - 0
    .max_flat_workgroup_size: 120
    .name:           fft_rtc_fwd_len17_factors_17_wgs_120_tpt_1_dp_op_CI_CI_sbrc_xy_z_unaligned
    .private_segment_fixed_size: 0
    .sgpr_count:     62
    .sgpr_spill_count: 0
    .symbol:         fft_rtc_fwd_len17_factors_17_wgs_120_tpt_1_dp_op_CI_CI_sbrc_xy_z_unaligned.kd
    .uniform_work_group_size: 1
    .uses_dynamic_stack: false
    .vgpr_count:     174
    .vgpr_spill_count: 0
    .wavefront_size: 32
    .workgroup_processor_mode: 1
amdhsa.target:   amdgcn-amd-amdhsa--gfx1030
amdhsa.version:
  - 1
  - 2
...

	.end_amdgpu_metadata
